;; amdgpu-corpus repo=ROCm/rocFFT kind=compiled arch=gfx906 opt=O3
	.text
	.amdgcn_target "amdgcn-amd-amdhsa--gfx906"
	.amdhsa_code_object_version 6
	.protected	fft_rtc_fwd_len77_factors_7_11_wgs_253_tpt_11_halfLds_half_ip_CI_unitstride_sbrr_dirReg ; -- Begin function fft_rtc_fwd_len77_factors_7_11_wgs_253_tpt_11_halfLds_half_ip_CI_unitstride_sbrr_dirReg
	.globl	fft_rtc_fwd_len77_factors_7_11_wgs_253_tpt_11_halfLds_half_ip_CI_unitstride_sbrr_dirReg
	.p2align	8
	.type	fft_rtc_fwd_len77_factors_7_11_wgs_253_tpt_11_halfLds_half_ip_CI_unitstride_sbrr_dirReg,@function
fft_rtc_fwd_len77_factors_7_11_wgs_253_tpt_11_halfLds_half_ip_CI_unitstride_sbrr_dirReg: ; @fft_rtc_fwd_len77_factors_7_11_wgs_253_tpt_11_halfLds_half_ip_CI_unitstride_sbrr_dirReg
; %bb.0:
	s_load_dwordx2 s[2:3], s[4:5], 0x50
	s_load_dwordx4 s[8:11], s[4:5], 0x0
	s_load_dwordx2 s[12:13], s[4:5], 0x18
	v_mul_u32_u24_e32 v1, 0x1746, v0
	v_lshrrev_b32_e32 v1, 16, v1
	v_mad_u64_u32 v[4:5], s[0:1], s6, 23, v[1:2]
	v_mov_b32_e32 v6, 0
	s_waitcnt lgkmcnt(0)
	v_cmp_lt_u64_e64 s[0:1], s[10:11], 2
	v_mov_b32_e32 v5, v6
	v_mov_b32_e32 v1, 0
	;; [unrolled: 1-line block ×3, first 2 shown]
	s_and_b64 vcc, exec, s[0:1]
	v_mov_b32_e32 v2, 0
	v_mov_b32_e32 v10, v4
	s_cbranch_vccnz .LBB0_8
; %bb.1:
	s_load_dwordx2 s[0:1], s[4:5], 0x10
	s_add_u32 s6, s12, 8
	s_addc_u32 s7, s13, 0
	v_mov_b32_e32 v1, 0
	v_mov_b32_e32 v9, v5
	s_waitcnt lgkmcnt(0)
	s_add_u32 s16, s0, 8
	s_mov_b64 s[14:15], 1
	v_mov_b32_e32 v2, 0
	s_addc_u32 s17, s1, 0
	v_mov_b32_e32 v8, v4
.LBB0_2:                                ; =>This Inner Loop Header: Depth=1
	s_load_dwordx2 s[18:19], s[16:17], 0x0
                                        ; implicit-def: $vgpr10_vgpr11
	s_waitcnt lgkmcnt(0)
	v_or_b32_e32 v7, s19, v9
	v_cmp_ne_u64_e32 vcc, 0, v[6:7]
	s_and_saveexec_b64 s[0:1], vcc
	s_xor_b64 s[20:21], exec, s[0:1]
	s_cbranch_execz .LBB0_4
; %bb.3:                                ;   in Loop: Header=BB0_2 Depth=1
	v_cvt_f32_u32_e32 v3, s18
	v_cvt_f32_u32_e32 v5, s19
	s_sub_u32 s0, 0, s18
	s_subb_u32 s1, 0, s19
	v_mac_f32_e32 v3, 0x4f800000, v5
	v_rcp_f32_e32 v3, v3
	v_mul_f32_e32 v3, 0x5f7ffffc, v3
	v_mul_f32_e32 v5, 0x2f800000, v3
	v_trunc_f32_e32 v5, v5
	v_mac_f32_e32 v3, 0xcf800000, v5
	v_cvt_u32_f32_e32 v5, v5
	v_cvt_u32_f32_e32 v3, v3
	v_mul_lo_u32 v7, s0, v5
	v_mul_hi_u32 v10, s0, v3
	v_mul_lo_u32 v12, s1, v3
	v_mul_lo_u32 v11, s0, v3
	v_add_u32_e32 v7, v10, v7
	v_add_u32_e32 v7, v7, v12
	v_mul_hi_u32 v10, v3, v11
	v_mul_lo_u32 v12, v3, v7
	v_mul_hi_u32 v14, v3, v7
	v_mul_hi_u32 v13, v5, v11
	v_mul_lo_u32 v11, v5, v11
	v_mul_hi_u32 v15, v5, v7
	v_add_co_u32_e32 v10, vcc, v10, v12
	v_addc_co_u32_e32 v12, vcc, 0, v14, vcc
	v_mul_lo_u32 v7, v5, v7
	v_add_co_u32_e32 v10, vcc, v10, v11
	v_addc_co_u32_e32 v10, vcc, v12, v13, vcc
	v_addc_co_u32_e32 v11, vcc, 0, v15, vcc
	v_add_co_u32_e32 v7, vcc, v10, v7
	v_addc_co_u32_e32 v10, vcc, 0, v11, vcc
	v_add_co_u32_e32 v3, vcc, v3, v7
	v_addc_co_u32_e32 v5, vcc, v5, v10, vcc
	v_mul_lo_u32 v7, s0, v5
	v_mul_hi_u32 v10, s0, v3
	v_mul_lo_u32 v11, s1, v3
	v_mul_lo_u32 v12, s0, v3
	v_add_u32_e32 v7, v10, v7
	v_add_u32_e32 v7, v7, v11
	v_mul_lo_u32 v13, v3, v7
	v_mul_hi_u32 v14, v3, v12
	v_mul_hi_u32 v15, v3, v7
	;; [unrolled: 1-line block ×3, first 2 shown]
	v_mul_lo_u32 v12, v5, v12
	v_mul_hi_u32 v10, v5, v7
	v_add_co_u32_e32 v13, vcc, v14, v13
	v_addc_co_u32_e32 v14, vcc, 0, v15, vcc
	v_mul_lo_u32 v7, v5, v7
	v_add_co_u32_e32 v12, vcc, v13, v12
	v_addc_co_u32_e32 v11, vcc, v14, v11, vcc
	v_addc_co_u32_e32 v10, vcc, 0, v10, vcc
	v_add_co_u32_e32 v7, vcc, v11, v7
	v_addc_co_u32_e32 v10, vcc, 0, v10, vcc
	v_add_co_u32_e32 v3, vcc, v3, v7
	v_addc_co_u32_e32 v5, vcc, v5, v10, vcc
	v_mad_u64_u32 v[10:11], s[0:1], v8, v5, 0
	v_mul_hi_u32 v7, v8, v3
	v_mad_u64_u32 v[12:13], s[0:1], v9, v5, 0
	v_add_co_u32_e32 v7, vcc, v7, v10
	v_addc_co_u32_e32 v14, vcc, 0, v11, vcc
	v_mad_u64_u32 v[10:11], s[0:1], v9, v3, 0
	v_add_co_u32_e32 v3, vcc, v7, v10
	v_addc_co_u32_e32 v3, vcc, v14, v11, vcc
	v_addc_co_u32_e32 v5, vcc, 0, v13, vcc
	v_add_co_u32_e32 v3, vcc, v3, v12
	v_addc_co_u32_e32 v5, vcc, 0, v5, vcc
	v_mul_lo_u32 v7, s19, v3
	v_mul_lo_u32 v12, s18, v5
	v_mad_u64_u32 v[10:11], s[0:1], s18, v3, 0
	v_add3_u32 v7, v11, v12, v7
	v_sub_u32_e32 v11, v9, v7
	v_mov_b32_e32 v12, s19
	v_sub_co_u32_e32 v10, vcc, v8, v10
	v_subb_co_u32_e64 v11, s[0:1], v11, v12, vcc
	v_subrev_co_u32_e64 v12, s[0:1], s18, v10
	v_subbrev_co_u32_e64 v11, s[0:1], 0, v11, s[0:1]
	v_cmp_le_u32_e64 s[0:1], s19, v11
	v_cndmask_b32_e64 v13, 0, -1, s[0:1]
	v_cmp_le_u32_e64 s[0:1], s18, v12
	v_cndmask_b32_e64 v12, 0, -1, s[0:1]
	v_cmp_eq_u32_e64 s[0:1], s19, v11
	v_cndmask_b32_e64 v11, v13, v12, s[0:1]
	v_add_co_u32_e64 v12, s[0:1], 2, v3
	v_addc_co_u32_e64 v13, s[0:1], 0, v5, s[0:1]
	v_add_co_u32_e64 v14, s[0:1], 1, v3
	v_addc_co_u32_e64 v15, s[0:1], 0, v5, s[0:1]
	v_subb_co_u32_e32 v7, vcc, v9, v7, vcc
	v_cmp_ne_u32_e64 s[0:1], 0, v11
	v_cmp_le_u32_e32 vcc, s19, v7
	v_cndmask_b32_e64 v11, v15, v13, s[0:1]
	v_cndmask_b32_e64 v13, 0, -1, vcc
	v_cmp_le_u32_e32 vcc, s18, v10
	v_cndmask_b32_e64 v10, 0, -1, vcc
	v_cmp_eq_u32_e32 vcc, s19, v7
	v_cndmask_b32_e32 v7, v13, v10, vcc
	v_cmp_ne_u32_e32 vcc, 0, v7
	v_cndmask_b32_e32 v11, v5, v11, vcc
	v_cndmask_b32_e64 v5, v14, v12, s[0:1]
	v_cndmask_b32_e32 v10, v3, v5, vcc
.LBB0_4:                                ;   in Loop: Header=BB0_2 Depth=1
	s_andn2_saveexec_b64 s[0:1], s[20:21]
	s_cbranch_execz .LBB0_6
; %bb.5:                                ;   in Loop: Header=BB0_2 Depth=1
	v_cvt_f32_u32_e32 v3, s18
	s_sub_i32 s20, 0, s18
	v_mov_b32_e32 v11, v6
	v_rcp_iflag_f32_e32 v3, v3
	v_mul_f32_e32 v3, 0x4f7ffffe, v3
	v_cvt_u32_f32_e32 v3, v3
	v_mul_lo_u32 v5, s20, v3
	v_mul_hi_u32 v5, v3, v5
	v_add_u32_e32 v3, v3, v5
	v_mul_hi_u32 v3, v8, v3
	v_mul_lo_u32 v5, v3, s18
	v_add_u32_e32 v7, 1, v3
	v_sub_u32_e32 v5, v8, v5
	v_subrev_u32_e32 v10, s18, v5
	v_cmp_le_u32_e32 vcc, s18, v5
	v_cndmask_b32_e32 v5, v5, v10, vcc
	v_cndmask_b32_e32 v3, v3, v7, vcc
	v_add_u32_e32 v7, 1, v3
	v_cmp_le_u32_e32 vcc, s18, v5
	v_cndmask_b32_e32 v10, v3, v7, vcc
.LBB0_6:                                ;   in Loop: Header=BB0_2 Depth=1
	s_or_b64 exec, exec, s[0:1]
	v_mul_lo_u32 v3, v11, s18
	v_mul_lo_u32 v5, v10, s19
	v_mad_u64_u32 v[12:13], s[0:1], v10, s18, 0
	s_load_dwordx2 s[0:1], s[6:7], 0x0
	s_add_u32 s14, s14, 1
	v_add3_u32 v3, v13, v5, v3
	v_sub_co_u32_e32 v5, vcc, v8, v12
	v_subb_co_u32_e32 v3, vcc, v9, v3, vcc
	s_waitcnt lgkmcnt(0)
	v_mul_lo_u32 v3, s0, v3
	v_mul_lo_u32 v7, s1, v5
	v_mad_u64_u32 v[1:2], s[0:1], s0, v5, v[1:2]
	s_addc_u32 s15, s15, 0
	s_add_u32 s6, s6, 8
	v_add3_u32 v2, v7, v2, v3
	v_mov_b32_e32 v7, s10
	v_mov_b32_e32 v8, s11
	s_addc_u32 s7, s7, 0
	v_cmp_ge_u64_e32 vcc, s[14:15], v[7:8]
	s_add_u32 s16, s16, 8
	s_addc_u32 s17, s17, 0
	s_cbranch_vccnz .LBB0_8
; %bb.7:                                ;   in Loop: Header=BB0_2 Depth=1
	v_mov_b32_e32 v8, v10
	v_mov_b32_e32 v9, v11
	s_branch .LBB0_2
.LBB0_8:
	s_lshl_b64 s[0:1], s[10:11], 3
	s_add_u32 s0, s12, s0
	s_addc_u32 s1, s13, s1
	s_load_dwordx2 s[6:7], s[0:1], 0x0
	s_load_dwordx2 s[10:11], s[4:5], 0x20
	v_mov_b32_e32 v16, 0
	v_mov_b32_e32 v15, 0
	;; [unrolled: 1-line block ×3, first 2 shown]
	s_waitcnt lgkmcnt(0)
	v_mad_u64_u32 v[1:2], s[0:1], s6, v10, v[1:2]
	s_mov_b32 s0, 0x1745d175
	v_mul_lo_u32 v3, s6, v11
	v_mul_lo_u32 v5, s7, v10
	v_mul_hi_u32 v6, v0, s0
	v_cmp_gt_u64_e32 vcc, s[10:11], v[10:11]
                                        ; implicit-def: $vgpr19
                                        ; implicit-def: $vgpr17
                                        ; implicit-def: $vgpr20
                                        ; implicit-def: $vgpr21
	v_add3_u32 v2, v5, v2, v3
	v_mul_u32_u24_e32 v3, 11, v6
	v_sub_u32_e32 v0, v0, v3
	v_lshlrev_b64 v[2:3], 2, v[1:2]
	v_mov_b32_e32 v1, 0
	s_and_saveexec_b64 s[4:5], vcc
	s_cbranch_execz .LBB0_10
; %bb.9:
	v_mov_b32_e32 v1, 0
	v_mov_b32_e32 v5, s3
	v_add_co_u32_e64 v7, s[0:1], s2, v2
	v_addc_co_u32_e64 v8, s[0:1], v5, v3, s[0:1]
	v_lshlrev_b64 v[5:6], 2, v[0:1]
	v_add_co_u32_e64 v5, s[0:1], v7, v5
	v_addc_co_u32_e64 v6, s[0:1], v8, v6, s[0:1]
	global_load_dword v7, v[5:6], off offset:220
	global_load_dword v15, v[5:6], off
	global_load_dword v16, v[5:6], off offset:44
	global_load_dword v18, v[5:6], off offset:88
	;; [unrolled: 1-line block ×5, first 2 shown]
	s_mov_b32 s0, 0x5040100
	s_mov_b32 s1, 0x7060302
	s_waitcnt vmcnt(6)
	v_lshrrev_b32_e32 v19, 16, v7
	s_waitcnt vmcnt(2)
	v_perm_b32 v20, v7, v8, s0
	s_waitcnt vmcnt(1)
	v_perm_b32 v21, v17, v8, s1
.LBB0_10:
	s_or_b64 exec, exec, s[4:5]
	s_mov_b32 s0, 0xb21642c9
	v_mul_hi_u32 v5, v4, s0
	s_mov_b32 s0, 0x7060302
	s_mov_b32 s1, 0x5040100
	s_waitcnt vmcnt(0)
	v_perm_b32 v22, v16, v1, s0
	v_lshrrev_b32_e32 v5, 4, v5
	v_mul_lo_u32 v5, v5, 23
	v_perm_b32 v23, v18, v1, s1
	v_add_f16_e32 v6, v17, v16
	v_sub_f16_sdwa v7, v18, v19 dst_sel:DWORD dst_unused:UNUSED_PAD src0_sel:WORD_1 src1_sel:DWORD
	v_sub_u32_e32 v1, v4, v5
	v_mul_u32_u24_e32 v11, 0x4d, v1
	v_pk_add_f16 v1, v20, v23
	v_add_f16_sdwa v5, v6, v1 dst_sel:DWORD dst_unused:UNUSED_PAD src0_sel:DWORD src1_sel:WORD_1
	v_sub_f16_e32 v8, v6, v1
	v_alignbit_b32 v6, v6, v1, 16
	v_pk_add_f16 v4, v22, v21 neg_lo:[0,1] neg_hi:[0,1]
	v_pk_add_f16 v6, v1, v6 neg_lo:[0,1] neg_hi:[0,1]
	s_mov_b32 s0, 0x39e02b26
	v_add_f16_e32 v9, v7, v4
	v_pack_b32_f16 v10, v7, v4
	v_add_f16_e32 v5, v5, v1
	v_pk_mul_f16 v1, v6, s0
	s_movk_i32 s7, 0x3a52
	v_pk_add_f16 v10, v4, v10 neg_lo:[0,1] neg_hi:[0,1]
	v_sub_f16_sdwa v7, v7, v4 dst_sel:DWORD dst_unused:UNUSED_PAD src0_sel:DWORD src1_sel:WORD_1
	v_add_f16_sdwa v4, v4, v9 dst_sel:DWORD dst_unused:UNUSED_PAD src0_sel:WORD_1 src1_sel:DWORD
	v_fma_f16 v9, v8, s7, v1
	v_mul_f16_e32 v8, 0xba52, v8
	v_alignbit_b32 v8, v8, v1, 16
	v_pk_fma_f16 v6, v6, s0, v8 neg_lo:[1,0,0] neg_hi:[1,0,0]
	s_mov_b32 s0, 0x3574b846
	v_mul_f16_e32 v7, 0x3b00, v7
	v_add_f16_e32 v1, v5, v15
	v_pk_fma_f16 v7, v10, s0, v7 op_sel_hi:[1,1,0] neg_lo:[1,0,0] neg_hi:[1,0,1]
	v_pk_mul_f16 v10, v10, s0
	s_mov_b32 s10, 0xbcab
	s_movk_i32 s6, 0x370e
	v_mul_f16_e32 v8, 0x370e, v4
	v_fma_f16 v5, v5, s10, v1
	v_add_f16_sdwa v10, v10, v10 dst_sel:DWORD dst_unused:UNUSED_PAD src0_sel:WORD_1 src1_sel:DWORD
	v_add_f16_e32 v12, v9, v5
	v_pk_add_f16 v6, v6, v5 op_sel_hi:[1,0]
	v_fma_f16 v13, v4, s6, v10
	v_pk_add_f16 v4, v7, v8 op_sel_hi:[1,0]
	v_pk_add_f16 v5, v6, v4
	v_pk_add_f16 v6, v6, v4 neg_lo:[0,1] neg_hi:[0,1]
	s_mov_b32 s0, 0xffff
	v_add_f16_e32 v7, v12, v13
	v_mad_u32_u24 v4, v0, 14, 0
	v_bfi_b32 v10, s0, v5, v6
	v_alignbit_b32 v9, v6, v5, 16
	v_pack_b32_f16 v8, v1, v7
	v_lshl_add_u32 v24, v11, 1, v4
	ds_write_b96 v24, v[8:10]
	s_movk_i32 s11, 0x3b00
	v_sub_f16_e32 v8, v12, v13
	v_lshrrev_b32_e32 v10, 16, v5
	v_cmp_gt_u32_e64 s[0:1], 7, v0
	v_lshlrev_b32_e32 v25, 1, v11
	v_lshrrev_b32_e32 v9, 16, v6
	v_lshlrev_b32_e32 v26, 1, v0
	ds_write_b16 v24, v8 offset:12
	s_waitcnt lgkmcnt(0)
	s_barrier
	s_waitcnt lgkmcnt(0)
                                        ; implicit-def: $vgpr12
                                        ; implicit-def: $vgpr11
                                        ; implicit-def: $vgpr14
                                        ; implicit-def: $vgpr13
	s_and_saveexec_b64 s[4:5], s[0:1]
	s_cbranch_execz .LBB0_12
; %bb.11:
	v_add3_u32 v1, 0, v25, v26
	v_mul_i32_i24_e32 v5, -12, v0
	v_add3_u32 v4, v4, v5, v25
	ds_read_u16 v1, v1
	ds_read_u16 v7, v4 offset:14
	ds_read_u16 v10, v4 offset:28
	;; [unrolled: 1-line block ×10, first 2 shown]
.LBB0_12:
	s_or_b64 exec, exec, s[4:5]
	v_sub_f16_e32 v4, v16, v17
	v_add_f16_sdwa v16, v19, v18 dst_sel:DWORD dst_unused:UNUSED_PAD src0_sel:DWORD src1_sel:WORD_1
	v_pk_add_f16 v17, v21, v22
	v_pk_add_f16 v18, v23, v20 neg_lo:[0,1] neg_hi:[0,1]
	v_add_f16_sdwa v19, v17, v16 dst_sel:DWORD dst_unused:UNUSED_PAD src0_sel:WORD_1 src1_sel:DWORD
	v_sub_f16_sdwa v20, v16, v17 dst_sel:DWORD dst_unused:UNUSED_PAD src0_sel:DWORD src1_sel:WORD_1
	v_sub_f16_e32 v16, v17, v16
	v_sub_f16_sdwa v21, v17, v17 dst_sel:DWORD dst_unused:UNUSED_PAD src0_sel:WORD_1 src1_sel:DWORD
	v_add_f16_sdwa v22, v18, v18 dst_sel:DWORD dst_unused:UNUSED_PAD src0_sel:WORD_1 src1_sel:DWORD
	v_add_f16_e32 v17, v19, v17
	v_mul_f16_e32 v16, 0x2b26, v16
	s_movk_i32 s4, 0x39e0
	v_sub_f16_sdwa v23, v18, v18 dst_sel:DWORD dst_unused:UNUSED_PAD src0_sel:DWORD src1_sel:WORD_1
	v_sub_f16_e32 v27, v4, v18
	v_sub_f16_sdwa v18, v18, v4 dst_sel:DWORD dst_unused:UNUSED_PAD src0_sel:WORD_1 src1_sel:DWORD
	v_add_f16_e32 v19, v4, v22
	v_add_f16_sdwa v4, v17, v15 dst_sel:DWORD dst_unused:UNUSED_PAD src0_sel:DWORD src1_sel:WORD_1
	v_mul_f16_e32 v15, 0x3a52, v21
	v_fma_f16 v21, v21, s7, v16
	v_fma_f16 v16, v20, s4, -v16
	s_mov_b32 s4, 0xb9e0
	v_mul_f16_e32 v22, 0xb846, v23
	v_fma_f16 v15, v20, s4, -v15
	s_movk_i32 s4, 0x3574
	v_mul_f16_e32 v23, 0x3b00, v18
	v_fma_f16 v20, v27, s4, v22
	s_mov_b32 s4, 0xb574
	v_fma_f16 v17, v17, s10, v4
	v_fma_f16 v18, v18, s11, -v22
	v_fma_f16 v22, v27, s4, -v23
	v_add_f16_e32 v21, v21, v17
	v_add_f16_e32 v16, v16, v17
	;; [unrolled: 1-line block ×3, first 2 shown]
	v_fma_f16 v23, v19, s6, v20
	v_fma_f16 v17, v19, s6, v18
	v_fma_f16 v22, v19, s6, v22
	v_sub_f16_e32 v20, v21, v23
	v_sub_f16_e32 v19, v15, v22
	v_add_f16_e32 v18, v17, v16
	v_sub_f16_e32 v17, v16, v17
	v_add_f16_e32 v15, v22, v15
	v_add_f16_e32 v16, v23, v21
	v_pack_b32_f16 v23, v17, v15
	v_pack_b32_f16 v22, v19, v18
	;; [unrolled: 1-line block ×3, first 2 shown]
	s_waitcnt lgkmcnt(0)
	s_barrier
	ds_write_b96 v24, v[21:23]
	ds_write_b16 v24, v16 offset:12
	s_waitcnt lgkmcnt(0)
	s_barrier
	s_waitcnt lgkmcnt(0)
                                        ; implicit-def: $vgpr22
                                        ; implicit-def: $vgpr21
                                        ; implicit-def: $vgpr24
                                        ; implicit-def: $vgpr23
	s_and_saveexec_b64 s[4:5], s[0:1]
	s_cbranch_execnz .LBB0_15
; %bb.13:
	s_or_b64 exec, exec, s[4:5]
	s_and_b64 s[0:1], vcc, s[0:1]
	s_and_saveexec_b64 s[4:5], s[0:1]
	s_cbranch_execnz .LBB0_16
.LBB0_14:
	s_endpgm
.LBB0_15:
	v_add3_u32 v4, 0, v25, v26
	v_add3_u32 v22, 0, v26, v25
	ds_read_u16 v4, v4
	ds_read_u16 v20, v22 offset:14
	ds_read_u16 v19, v22 offset:28
	;; [unrolled: 1-line block ×10, first 2 shown]
	s_or_b64 exec, exec, s[4:5]
	s_and_b64 s[0:1], vcc, s[0:1]
	s_and_saveexec_b64 s[4:5], s[0:1]
	s_cbranch_execz .LBB0_14
.LBB0_16:
	v_mul_u32_u24_e32 v25, 10, v0
	v_lshlrev_b32_e32 v35, 2, v25
	global_load_dwordx4 v[25:28], v35, s[8:9]
	global_load_dwordx4 v[29:32], v35, s[8:9] offset:16
	global_load_dwordx2 v[33:34], v35, s[8:9] offset:32
	s_mov_b32 s0, 0xbbad
	s_movk_i32 s1, 0x3abb
	s_mov_b32 s4, 0xb93d
	s_movk_i32 s5, 0x36a6
	s_mov_b32 s6, 0xb08e
	v_add_co_u32_e32 v2, vcc, s2, v2
	s_waitcnt vmcnt(2) lgkmcnt(9)
	v_mul_f16_sdwa v35, v20, v25 dst_sel:DWORD dst_unused:UNUSED_PAD src0_sel:DWORD src1_sel:WORD_1
	v_mul_f16_sdwa v36, v7, v25 dst_sel:DWORD dst_unused:UNUSED_PAD src0_sel:DWORD src1_sel:WORD_1
	s_waitcnt vmcnt(0) lgkmcnt(0)
	v_mul_f16_sdwa v51, v22, v34 dst_sel:DWORD dst_unused:UNUSED_PAD src0_sel:DWORD src1_sel:WORD_1
	v_mul_f16_sdwa v52, v12, v34 dst_sel:DWORD dst_unused:UNUSED_PAD src0_sel:DWORD src1_sel:WORD_1
	;; [unrolled: 1-line block ×8, first 2 shown]
	v_fma_f16 v7, v7, v25, -v35
	v_fma_f16 v20, v20, v25, v36
	v_fma_f16 v12, v12, v34, -v51
	v_fma_f16 v22, v22, v34, v52
	v_mul_f16_sdwa v39, v18, v27 dst_sel:DWORD dst_unused:UNUSED_PAD src0_sel:DWORD src1_sel:WORD_1
	v_mul_f16_sdwa v40, v6, v27 dst_sel:DWORD dst_unused:UNUSED_PAD src0_sel:DWORD src1_sel:WORD_1
	;; [unrolled: 1-line block ×7, first 2 shown]
	v_fma_f16 v10, v10, v26, -v37
	v_fma_f16 v19, v19, v26, v38
	v_fma_f16 v8, v8, v30, -v47
	v_fma_f16 v16, v16, v30, v48
	;; [unrolled: 2-line block ×3, first 2 shown]
	v_sub_f16_e32 v25, v7, v12
	v_sub_f16_e32 v30, v20, v22
	v_mul_f16_sdwa v41, v17, v28 dst_sel:DWORD dst_unused:UNUSED_PAD src0_sel:DWORD src1_sel:WORD_1
	v_mul_f16_sdwa v42, v5, v28 dst_sel:DWORD dst_unused:UNUSED_PAD src0_sel:DWORD src1_sel:WORD_1
	v_mul_f16_sdwa v46, v13, v31 dst_sel:DWORD dst_unused:UNUSED_PAD src0_sel:DWORD src1_sel:WORD_1
	v_fma_f16 v6, v6, v27, -v39
	v_fma_f16 v18, v18, v27, v40
	v_fma_f16 v14, v14, v32, -v43
	v_fma_f16 v24, v24, v32, v44
	v_fma_f16 v13, v13, v31, -v45
	v_fma_f16 v9, v9, v29, -v49
	v_fma_f16 v15, v15, v29, v50
	v_add_f16_e32 v26, v20, v22
	v_sub_f16_e32 v27, v10, v11
	v_add_f16_e32 v29, v7, v12
	v_sub_f16_e32 v32, v19, v21
	v_mul_f16_e32 v43, 0xb482, v25
	v_mul_f16_e32 v45, 0xb482, v30
	v_fma_f16 v5, v5, v28, -v41
	v_fma_f16 v17, v17, v28, v42
	v_fma_f16 v23, v23, v31, v46
	v_add_f16_e32 v28, v19, v21
	v_add_f16_e32 v31, v10, v11
	v_sub_f16_e32 v33, v6, v14
	v_sub_f16_e32 v36, v18, v24
	v_mul_f16_e32 v44, 0x3853, v27
	v_mul_f16_e32 v46, 0x3853, v32
	v_fma_f16 v51, v26, s0, v43
	v_fma_f16 v53, v29, s0, -v45
	v_add_f16_e32 v34, v18, v24
	v_add_f16_e32 v35, v6, v14
	v_sub_f16_e32 v42, v17, v23
	v_mul_f16_e32 v47, 0xba0c, v33
	v_mul_f16_e32 v48, 0xba0c, v36
	v_fma_f16 v52, v28, s1, v44
	v_fma_f16 v54, v31, s1, -v46
	v_add_f16_e32 v51, v4, v51
	v_add_f16_e32 v53, v1, v53
	v_sub_f16_e32 v37, v5, v13
	v_add_f16_e32 v41, v5, v13
	v_fma_f16 v55, v34, s4, v47
	v_fma_f16 v56, v35, s4, -v48
	v_add_f16_e32 v51, v51, v52
	v_add_f16_e32 v52, v53, v54
	v_mul_f16_e32 v53, 0x3b47, v42
	v_add_f16_e32 v38, v17, v23
	v_mul_f16_e32 v49, 0x3b47, v37
	v_add_f16_e32 v51, v51, v55
	v_add_f16_e32 v52, v52, v56
	v_fma_f16 v54, v41, s5, -v53
	v_sub_f16_e32 v55, v15, v16
	v_sub_f16_e32 v39, v9, v8
	v_fma_f16 v57, v38, s5, v49
	v_add_f16_e32 v52, v52, v54
	v_add_f16_e32 v54, v9, v8
	v_mul_f16_e32 v56, 0xbbeb, v55
	v_add_f16_e32 v40, v15, v16
	v_mul_f16_e32 v50, 0xbbeb, v39
	v_add_f16_e32 v51, v51, v57
	v_fma_f16 v57, v54, s6, -v56
	v_fma_f16 v58, v40, s6, v50
	v_add_f16_e32 v52, v52, v57
	v_mul_f16_e32 v57, 0xba0c, v25
	v_add_f16_e32 v51, v51, v58
	v_fma_f16 v58, v26, s4, v57
	v_mul_f16_e32 v59, 0x3beb, v27
	v_add_f16_e32 v58, v4, v58
	v_fma_f16 v60, v28, s6, v59
	v_add_f16_e32 v58, v58, v60
	v_mul_f16_e32 v60, 0xb853, v33
	v_fma_f16 v61, v34, s1, v60
	v_add_f16_e32 v58, v58, v61
	v_mul_f16_e32 v61, 0xb482, v37
	;; [unrolled: 3-line block ×4, first 2 shown]
	v_fma_f16 v64, v29, s4, -v63
	v_mul_f16_e32 v65, 0x3beb, v32
	v_add_f16_e32 v7, v1, v7
	v_add_f16_e32 v64, v1, v64
	v_fma_f16 v66, v31, s6, -v65
	v_add_f16_e32 v7, v7, v10
	v_add_f16_e32 v64, v64, v66
	v_mul_f16_e32 v66, 0xb853, v36
	v_add_f16_e32 v6, v7, v6
	v_fma_f16 v67, v35, s1, -v66
	v_add_f16_e32 v5, v6, v5
	v_add_f16_e32 v64, v64, v67
	v_mul_f16_e32 v67, 0xb482, v42
	v_add_f16_e32 v5, v5, v9
	v_fma_f16 v7, v26, s0, -v43
	v_fma_f16 v68, v41, s0, -v67
	v_add_f16_e32 v5, v5, v8
	v_add_f16_e32 v7, v4, v7
	v_fma_f16 v8, v28, s1, -v44
	v_add_f16_e32 v64, v64, v68
	v_mul_f16_e32 v68, 0x3b47, v55
	v_add_f16_e32 v7, v7, v8
	v_fma_f16 v8, v34, s4, -v47
	v_fma_f16 v69, v54, s5, -v68
	v_add_f16_e32 v7, v7, v8
	v_fma_f16 v8, v38, s5, -v49
	v_add_f16_e32 v64, v64, v69
	v_mul_f16_e32 v69, 0xbbeb, v25
	v_add_f16_e32 v7, v7, v8
	v_fma_f16 v8, v40, s6, -v50
	v_fma_f16 v70, v26, s6, v69
	v_mul_f16_e32 v71, 0x3482, v27
	v_add_f16_e32 v7, v7, v8
	v_fma_f16 v8, v29, s0, v45
	v_add_f16_e32 v70, v4, v70
	v_fma_f16 v72, v28, s0, v71
	;; [unrolled: 2-line block ×3, first 2 shown]
	v_add_f16_e32 v70, v70, v72
	v_mul_f16_e32 v72, 0x3b47, v33
	v_add_f16_e32 v8, v8, v9
	v_fma_f16 v9, v35, s4, v48
	v_fma_f16 v73, v34, s5, v72
	v_add_f16_e32 v8, v8, v9
	v_fma_f16 v9, v41, s5, v53
	v_add_f16_e32 v70, v70, v73
	v_mul_f16_e32 v73, 0xb853, v37
	v_add_f16_e32 v8, v8, v9
	v_fma_f16 v9, v54, s6, v56
	v_fma_f16 v74, v38, s1, v73
	v_add_f16_e32 v8, v8, v9
	v_fma_f16 v9, v26, s4, -v57
	v_add_f16_e32 v70, v70, v74
	v_mul_f16_e32 v74, 0xba0c, v39
	v_add_f16_e32 v9, v4, v9
	v_fma_f16 v10, v28, s6, -v59
	v_fma_f16 v75, v40, s4, v74
	v_add_f16_e32 v9, v9, v10
	v_fma_f16 v10, v34, s1, -v60
	v_add_f16_e32 v70, v70, v75
	v_mul_f16_e32 v75, 0xbbeb, v30
	v_add_f16_e32 v9, v9, v10
	v_fma_f16 v10, v38, s0, -v61
	v_fma_f16 v76, v29, s6, -v75
	v_mul_f16_e32 v77, 0x3482, v32
	v_add_f16_e32 v5, v13, v5
	v_add_f16_e32 v9, v9, v10
	v_fma_f16 v10, v40, s5, -v62
	v_add_f16_e32 v76, v1, v76
	v_fma_f16 v78, v31, s0, -v77
	v_add_f16_e32 v5, v14, v5
	v_add_f16_e32 v9, v9, v10
	v_fma_f16 v10, v29, s4, v63
	v_add_f16_e32 v76, v76, v78
	v_mul_f16_e32 v78, 0x3b47, v36
	v_add_f16_e32 v5, v11, v5
	v_add_f16_e32 v10, v1, v10
	v_fma_f16 v11, v31, s6, v65
	v_fma_f16 v79, v35, s5, -v78
	v_add_f16_e32 v10, v10, v11
	v_fma_f16 v11, v35, s1, v66
	v_add_f16_e32 v76, v76, v79
	v_mul_f16_e32 v79, 0xb853, v42
	v_add_f16_e32 v10, v10, v11
	v_fma_f16 v11, v41, s0, v67
	v_fma_f16 v80, v41, s1, -v79
	v_add_f16_e32 v10, v10, v11
	v_fma_f16 v11, v54, s5, v68
	v_add_f16_e32 v76, v76, v80
	v_mul_f16_e32 v80, 0xba0c, v55
	v_add_f16_e32 v10, v10, v11
	v_fma_f16 v11, v26, s6, -v69
	v_fma_f16 v81, v54, s4, -v80
	v_add_f16_e32 v5, v12, v5
	v_add_f16_e32 v11, v4, v11
	v_fma_f16 v12, v28, s0, -v71
	v_add_f16_e32 v76, v76, v81
	v_mul_f16_e32 v81, 0xbb47, v25
	v_add_f16_e32 v11, v11, v12
	v_fma_f16 v12, v34, s5, -v72
	v_fma_f16 v82, v26, s5, v81
	v_mul_f16_e32 v83, 0xba0c, v27
	v_add_f16_e32 v11, v11, v12
	v_fma_f16 v12, v38, s1, -v73
	v_add_f16_e32 v82, v4, v82
	v_fma_f16 v84, v28, s4, v83
	v_add_f16_e32 v11, v11, v12
	v_fma_f16 v12, v40, s4, -v74
	v_add_f16_e32 v82, v82, v84
	v_mul_f16_e32 v84, 0x3482, v33
	v_add_f16_e32 v11, v11, v12
	v_fma_f16 v12, v29, s6, v75
	v_fma_f16 v85, v34, s0, v84
	v_add_f16_e32 v12, v1, v12
	v_fma_f16 v13, v31, s0, v77
	v_add_f16_e32 v82, v82, v85
	v_mul_f16_e32 v85, 0x3beb, v37
	v_add_f16_e32 v12, v12, v13
	v_fma_f16 v13, v35, s5, v78
	v_fma_f16 v86, v38, s6, v85
	v_add_f16_e32 v12, v12, v13
	v_fma_f16 v13, v41, s1, v79
	v_add_f16_e32 v82, v82, v86
	v_mul_f16_e32 v86, 0x3853, v39
	v_add_f16_e32 v12, v12, v13
	v_fma_f16 v13, v54, s4, v80
	v_fma_f16 v87, v40, s1, v86
	v_add_f16_e32 v12, v12, v13
	v_fma_f16 v13, v26, s5, -v81
	v_add_f16_e32 v82, v82, v87
	v_mul_f16_e32 v87, 0xbb47, v30
	v_add_f16_e32 v13, v4, v13
	v_fma_f16 v14, v28, s4, -v83
	v_fma_f16 v88, v29, s5, -v87
	v_mul_f16_e32 v89, 0xba0c, v32
	v_add_f16_e32 v6, v4, v20
	v_add_f16_e32 v13, v13, v14
	v_fma_f16 v14, v34, s0, -v84
	v_add_f16_e32 v88, v1, v88
	v_fma_f16 v90, v31, s4, -v89
	v_add_f16_e32 v6, v6, v19
	v_add_f16_e32 v13, v13, v14
	v_fma_f16 v14, v38, s6, -v85
	v_add_f16_e32 v88, v88, v90
	v_mul_f16_e32 v90, 0x3482, v36
	v_add_f16_e32 v6, v6, v18
	v_add_f16_e32 v13, v13, v14
	v_fma_f16 v14, v40, s1, -v86
	v_fma_f16 v91, v35, s0, -v90
	v_add_f16_e32 v6, v6, v17
	v_add_f16_e32 v13, v13, v14
	v_fma_f16 v14, v29, s5, v87
	v_add_f16_e32 v88, v88, v91
	v_mul_f16_e32 v91, 0x3beb, v42
	v_add_f16_e32 v6, v6, v15
	v_add_f16_e32 v14, v1, v14
	v_fma_f16 v15, v31, s4, v89
	v_fma_f16 v92, v41, s6, -v91
	v_add_f16_e32 v14, v14, v15
	v_fma_f16 v15, v35, s0, v90
	v_add_f16_e32 v88, v88, v92
	v_mul_f16_e32 v92, 0x3853, v55
	v_add_f16_e32 v14, v14, v15
	v_fma_f16 v15, v41, s6, v91
	v_fma_f16 v93, v54, s1, -v92
	v_mul_f16_e32 v25, 0xb853, v25
	v_add_f16_e32 v14, v14, v15
	v_fma_f16 v15, v54, s1, v92
	v_add_f16_e32 v88, v88, v93
	v_fma_f16 v93, v26, s1, v25
	v_mul_f16_e32 v27, 0xbb47, v27
	v_add_f16_e32 v14, v14, v15
	v_fma_f16 v15, v26, s1, -v25
	v_add_f16_e32 v93, v4, v93
	v_fma_f16 v94, v28, s5, v27
	v_mul_f16_e32 v33, 0xbbeb, v33
	v_add_f16_e32 v4, v4, v15
	v_fma_f16 v15, v28, s5, -v27
	;; [unrolled: 5-line block ×5, first 2 shown]
	v_add_f16_e32 v93, v93, v94
	v_fma_f16 v94, v29, s1, -v30
	v_mul_f16_e32 v32, 0xbb47, v32
	v_add_f16_e32 v4, v4, v15
	v_fma_f16 v15, v29, s1, v30
	v_add_f16_e32 v94, v1, v94
	v_mul_f16_e32 v36, 0xbbeb, v36
	v_add_f16_e32 v1, v1, v15
	v_fma_f16 v15, v31, s5, v32
	v_mul_f16_e32 v42, 0xba0c, v42
	v_add_f16_e32 v1, v1, v15
	v_fma_f16 v15, v35, s6, v36
	;; [unrolled: 3-line block ×3, first 2 shown]
	v_add_f16_e32 v6, v6, v16
	v_add_f16_e32 v1, v1, v15
	v_fma_f16 v15, v54, s0, v55
	v_fma_f16 v95, v31, s5, -v32
	v_add_f16_e32 v6, v23, v6
	v_add_f16_e32 v15, v1, v15
	v_mov_b32_e32 v1, 0
	v_add_f16_e32 v94, v94, v95
	v_fma_f16 v95, v35, s6, -v36
	v_add_f16_e32 v6, v24, v6
	v_mov_b32_e32 v16, s3
	v_lshlrev_b64 v[0:1], 2, v[0:1]
	v_add_f16_e32 v94, v94, v95
	v_fma_f16 v95, v41, s4, -v42
	v_add_f16_e32 v6, v21, v6
	v_addc_co_u32_e32 v3, vcc, v16, v3, vcc
	v_add_f16_e32 v94, v94, v95
	v_fma_f16 v95, v54, s0, -v55
	v_add_f16_e32 v6, v22, v6
	v_add_co_u32_e32 v0, vcc, v2, v0
	v_add_f16_e32 v94, v94, v95
	v_addc_co_u32_e32 v1, vcc, v3, v1, vcc
	v_pack_b32_f16 v2, v5, v6
	global_store_dword v[0:1], v2, off
	v_pack_b32_f16 v2, v94, v93
	global_store_dword v[0:1], v2, off offset:28
	v_pack_b32_f16 v2, v88, v82
	global_store_dword v[0:1], v2, off offset:56
	;; [unrolled: 2-line block ×10, first 2 shown]
	s_endpgm
	.section	.rodata,"a",@progbits
	.p2align	6, 0x0
	.amdhsa_kernel fft_rtc_fwd_len77_factors_7_11_wgs_253_tpt_11_halfLds_half_ip_CI_unitstride_sbrr_dirReg
		.amdhsa_group_segment_fixed_size 0
		.amdhsa_private_segment_fixed_size 0
		.amdhsa_kernarg_size 88
		.amdhsa_user_sgpr_count 6
		.amdhsa_user_sgpr_private_segment_buffer 1
		.amdhsa_user_sgpr_dispatch_ptr 0
		.amdhsa_user_sgpr_queue_ptr 0
		.amdhsa_user_sgpr_kernarg_segment_ptr 1
		.amdhsa_user_sgpr_dispatch_id 0
		.amdhsa_user_sgpr_flat_scratch_init 0
		.amdhsa_user_sgpr_private_segment_size 0
		.amdhsa_uses_dynamic_stack 0
		.amdhsa_system_sgpr_private_segment_wavefront_offset 0
		.amdhsa_system_sgpr_workgroup_id_x 1
		.amdhsa_system_sgpr_workgroup_id_y 0
		.amdhsa_system_sgpr_workgroup_id_z 0
		.amdhsa_system_sgpr_workgroup_info 0
		.amdhsa_system_vgpr_workitem_id 0
		.amdhsa_next_free_vgpr 96
		.amdhsa_next_free_sgpr 22
		.amdhsa_reserve_vcc 1
		.amdhsa_reserve_flat_scratch 0
		.amdhsa_float_round_mode_32 0
		.amdhsa_float_round_mode_16_64 0
		.amdhsa_float_denorm_mode_32 3
		.amdhsa_float_denorm_mode_16_64 3
		.amdhsa_dx10_clamp 1
		.amdhsa_ieee_mode 1
		.amdhsa_fp16_overflow 0
		.amdhsa_exception_fp_ieee_invalid_op 0
		.amdhsa_exception_fp_denorm_src 0
		.amdhsa_exception_fp_ieee_div_zero 0
		.amdhsa_exception_fp_ieee_overflow 0
		.amdhsa_exception_fp_ieee_underflow 0
		.amdhsa_exception_fp_ieee_inexact 0
		.amdhsa_exception_int_div_zero 0
	.end_amdhsa_kernel
	.text
.Lfunc_end0:
	.size	fft_rtc_fwd_len77_factors_7_11_wgs_253_tpt_11_halfLds_half_ip_CI_unitstride_sbrr_dirReg, .Lfunc_end0-fft_rtc_fwd_len77_factors_7_11_wgs_253_tpt_11_halfLds_half_ip_CI_unitstride_sbrr_dirReg
                                        ; -- End function
	.section	.AMDGPU.csdata,"",@progbits
; Kernel info:
; codeLenInByte = 4720
; NumSgprs: 26
; NumVgprs: 96
; ScratchSize: 0
; MemoryBound: 0
; FloatMode: 240
; IeeeMode: 1
; LDSByteSize: 0 bytes/workgroup (compile time only)
; SGPRBlocks: 3
; VGPRBlocks: 23
; NumSGPRsForWavesPerEU: 26
; NumVGPRsForWavesPerEU: 96
; Occupancy: 2
; WaveLimiterHint : 1
; COMPUTE_PGM_RSRC2:SCRATCH_EN: 0
; COMPUTE_PGM_RSRC2:USER_SGPR: 6
; COMPUTE_PGM_RSRC2:TRAP_HANDLER: 0
; COMPUTE_PGM_RSRC2:TGID_X_EN: 1
; COMPUTE_PGM_RSRC2:TGID_Y_EN: 0
; COMPUTE_PGM_RSRC2:TGID_Z_EN: 0
; COMPUTE_PGM_RSRC2:TIDIG_COMP_CNT: 0
	.type	__hip_cuid_e5580a06904d2ad5,@object ; @__hip_cuid_e5580a06904d2ad5
	.section	.bss,"aw",@nobits
	.globl	__hip_cuid_e5580a06904d2ad5
__hip_cuid_e5580a06904d2ad5:
	.byte	0                               ; 0x0
	.size	__hip_cuid_e5580a06904d2ad5, 1

	.ident	"AMD clang version 19.0.0git (https://github.com/RadeonOpenCompute/llvm-project roc-6.4.0 25133 c7fe45cf4b819c5991fe208aaa96edf142730f1d)"
	.section	".note.GNU-stack","",@progbits
	.addrsig
	.addrsig_sym __hip_cuid_e5580a06904d2ad5
	.amdgpu_metadata
---
amdhsa.kernels:
  - .args:
      - .actual_access:  read_only
        .address_space:  global
        .offset:         0
        .size:           8
        .value_kind:     global_buffer
      - .offset:         8
        .size:           8
        .value_kind:     by_value
      - .actual_access:  read_only
        .address_space:  global
        .offset:         16
        .size:           8
        .value_kind:     global_buffer
      - .actual_access:  read_only
        .address_space:  global
        .offset:         24
        .size:           8
        .value_kind:     global_buffer
      - .offset:         32
        .size:           8
        .value_kind:     by_value
      - .actual_access:  read_only
        .address_space:  global
        .offset:         40
        .size:           8
        .value_kind:     global_buffer
      - .actual_access:  read_only
        .address_space:  global
        .offset:         48
        .size:           8
        .value_kind:     global_buffer
      - .offset:         56
        .size:           4
        .value_kind:     by_value
      - .actual_access:  read_only
        .address_space:  global
        .offset:         64
        .size:           8
        .value_kind:     global_buffer
      - .actual_access:  read_only
        .address_space:  global
        .offset:         72
        .size:           8
        .value_kind:     global_buffer
      - .address_space:  global
        .offset:         80
        .size:           8
        .value_kind:     global_buffer
    .group_segment_fixed_size: 0
    .kernarg_segment_align: 8
    .kernarg_segment_size: 88
    .language:       OpenCL C
    .language_version:
      - 2
      - 0
    .max_flat_workgroup_size: 253
    .name:           fft_rtc_fwd_len77_factors_7_11_wgs_253_tpt_11_halfLds_half_ip_CI_unitstride_sbrr_dirReg
    .private_segment_fixed_size: 0
    .sgpr_count:     26
    .sgpr_spill_count: 0
    .symbol:         fft_rtc_fwd_len77_factors_7_11_wgs_253_tpt_11_halfLds_half_ip_CI_unitstride_sbrr_dirReg.kd
    .uniform_work_group_size: 1
    .uses_dynamic_stack: false
    .vgpr_count:     96
    .vgpr_spill_count: 0
    .wavefront_size: 64
amdhsa.target:   amdgcn-amd-amdhsa--gfx906
amdhsa.version:
  - 1
  - 2
...

	.end_amdgpu_metadata
